;; amdgpu-corpus repo=ROCm/rocFFT kind=compiled arch=gfx906 opt=O3
	.text
	.amdgcn_target "amdgcn-amd-amdhsa--gfx906"
	.amdhsa_code_object_version 6
	.protected	bluestein_single_back_len88_dim1_dp_op_CI_CI ; -- Begin function bluestein_single_back_len88_dim1_dp_op_CI_CI
	.globl	bluestein_single_back_len88_dim1_dp_op_CI_CI
	.p2align	8
	.type	bluestein_single_back_len88_dim1_dp_op_CI_CI,@function
bluestein_single_back_len88_dim1_dp_op_CI_CI: ; @bluestein_single_back_len88_dim1_dp_op_CI_CI
; %bb.0:
	s_mov_b64 s[46:47], s[2:3]
	v_mul_u32_u24_e32 v1, 0x1746, v0
	s_mov_b64 s[44:45], s[0:1]
	s_load_dwordx4 s[0:3], s[4:5], 0x28
	v_lshrrev_b32_e32 v1, 16, v1
	s_add_u32 s44, s44, s7
	v_mad_u64_u32 v[76:77], s[6:7], s6, 11, v[1:2]
	v_mov_b32_e32 v77, 0
	s_addc_u32 s45, s45, 0
	s_waitcnt lgkmcnt(0)
	v_cmp_gt_u64_e32 vcc, s[0:1], v[76:77]
	s_and_saveexec_b64 s[0:1], vcc
	s_cbranch_execz .LBB0_15
; %bb.1:
	s_mov_b32 s0, 0xba2e8ba3
	v_mul_hi_u32 v2, v76, s0
	s_load_dwordx2 s[6:7], s[4:5], 0x0
	s_load_dwordx2 s[12:13], s[4:5], 0x38
	v_mul_lo_u16_e32 v1, 11, v1
	v_sub_u16_e32 v157, v0, v1
	v_lshrrev_b32_e32 v2, 3, v2
	v_mul_lo_u32 v2, v2, 11
	v_cmp_gt_u16_e32 vcc, 8, v157
	v_lshlrev_b32_e32 v161, 4, v157
	v_or_b32_e32 v166, 8, v157
	v_sub_u32_e32 v0, v76, v2
	v_mul_u32_u24_e32 v255, 0x58, v0
	v_or_b32_e32 v0, v255, v157
	v_lshlrev_b32_e32 v160, 4, v0
	v_or_b32_e32 v167, 16, v157
	v_or_b32_e32 v168, 24, v157
	;; [unrolled: 1-line block ×7, first 2 shown]
	s_and_saveexec_b64 s[14:15], vcc
	s_cbranch_execz .LBB0_3
; %bb.2:
	s_load_dwordx2 s[0:1], s[4:5], 0x18
	v_mov_b32_e32 v8, s3
	v_or_b32_e32 v68, 0x48, v157
	s_waitcnt lgkmcnt(0)
	s_load_dwordx4 s[8:11], s[0:1], 0x0
	s_waitcnt lgkmcnt(0)
	v_mad_u64_u32 v[0:1], s[0:1], s10, v76, 0
	v_mad_u64_u32 v[2:3], s[0:1], s8, v157, 0
	;; [unrolled: 1-line block ×5, first 2 shown]
	v_mov_b32_e32 v1, v4
	v_lshlrev_b64 v[0:1], 4, v[0:1]
	v_mov_b32_e32 v3, v5
	v_add_co_u32_e64 v89, s[0:1], s2, v0
	v_mov_b32_e32 v0, v7
	v_addc_co_u32_e64 v90, s[0:1], v8, v1, s[0:1]
	v_mad_u64_u32 v[0:1], s[0:1], s9, v166, v[0:1]
	v_lshlrev_b64 v[2:3], 4, v[2:3]
	v_add_co_u32_e64 v8, s[0:1], v89, v2
	v_addc_co_u32_e64 v9, s[0:1], v90, v3, s[0:1]
	v_mov_b32_e32 v7, v0
	v_mad_u64_u32 v[16:17], s[0:1], s8, v167, 0
	v_lshlrev_b64 v[0:1], 4, v[6:7]
	v_add_co_u32_e64 v10, s[0:1], v89, v0
	v_addc_co_u32_e64 v11, s[0:1], v90, v1, s[0:1]
	global_load_dwordx4 v[0:3], v[8:9], off
	global_load_dwordx4 v[4:7], v[10:11], off
	v_mov_b32_e32 v8, v17
	v_mad_u64_u32 v[17:18], s[0:1], s9, v167, v[8:9]
	v_mad_u64_u32 v[18:19], s[0:1], s8, v168, 0
	v_lshlrev_b64 v[16:17], 4, v[16:17]
	global_load_dwordx4 v[8:11], v161, s[6:7]
	global_load_dwordx4 v[12:15], v161, s[6:7] offset:128
	v_mad_u64_u32 v[19:20], s[0:1], s9, v168, v[19:20]
	v_add_co_u32_e64 v24, s[0:1], v89, v16
	v_addc_co_u32_e64 v25, s[0:1], v90, v17, s[0:1]
	v_mad_u64_u32 v[32:33], s[0:1], s8, v165, 0
	v_lshlrev_b64 v[16:17], 4, v[18:19]
	v_add_co_u32_e64 v26, s[0:1], v89, v16
	v_addc_co_u32_e64 v27, s[0:1], v90, v17, s[0:1]
	global_load_dwordx4 v[16:19], v[24:25], off
	global_load_dwordx4 v[20:23], v[26:27], off
	v_mov_b32_e32 v24, v33
	v_mad_u64_u32 v[33:34], s[0:1], s9, v165, v[24:25]
	v_mad_u64_u32 v[34:35], s[0:1], s8, v164, 0
	v_lshlrev_b64 v[32:33], 4, v[32:33]
	global_load_dwordx4 v[24:27], v161, s[6:7] offset:256
	global_load_dwordx4 v[28:31], v161, s[6:7] offset:384
	v_mad_u64_u32 v[35:36], s[0:1], s9, v164, v[35:36]
	v_add_co_u32_e64 v40, s[0:1], v89, v32
	v_addc_co_u32_e64 v41, s[0:1], v90, v33, s[0:1]
	v_mad_u64_u32 v[48:49], s[0:1], s8, v163, 0
	v_lshlrev_b64 v[32:33], 4, v[34:35]
	v_add_co_u32_e64 v42, s[0:1], v89, v32
	v_addc_co_u32_e64 v43, s[0:1], v90, v33, s[0:1]
	global_load_dwordx4 v[32:35], v[40:41], off
	global_load_dwordx4 v[36:39], v[42:43], off
	v_mov_b32_e32 v40, v49
	v_mad_u64_u32 v[49:50], s[0:1], s9, v163, v[40:41]
	v_mad_u64_u32 v[50:51], s[0:1], s8, v187, 0
	v_lshlrev_b64 v[48:49], 4, v[48:49]
	global_load_dwordx4 v[40:43], v161, s[6:7] offset:512
	;; [unrolled: 15-line block ×3, first 2 shown]
	global_load_dwordx4 v[60:63], v161, s[6:7] offset:896
	v_mad_u64_u32 v[67:68], s[0:1], s9, v68, v[67:68]
	v_add_co_u32_e64 v81, s[0:1], v89, v64
	v_addc_co_u32_e64 v82, s[0:1], v90, v65, s[0:1]
	v_lshlrev_b64 v[64:65], 4, v[66:67]
	v_or_b32_e32 v66, 0x50, v157
	v_mad_u64_u32 v[83:84], s[0:1], s8, v66, 0
	v_add_co_u32_e64 v85, s[0:1], v89, v64
	v_mov_b32_e32 v64, v84
	v_addc_co_u32_e64 v86, s[0:1], v90, v65, s[0:1]
	v_mad_u64_u32 v[87:88], s[0:1], s9, v66, v[64:65]
	global_load_dwordx4 v[64:67], v[81:82], off
	global_load_dwordx4 v[68:71], v[85:86], off
	global_load_dwordx4 v[72:75], v161, s[6:7] offset:1024
	global_load_dwordx4 v[77:80], v161, s[6:7] offset:1152
	s_waitcnt vmcnt(16)
	v_mul_f64 v[91:92], v[6:7], v[14:15]
	v_mov_b32_e32 v84, v87
	v_lshlrev_b64 v[81:82], 4, v[83:84]
	v_mul_f64 v[14:15], v[4:5], v[14:15]
	v_add_co_u32_e64 v89, s[0:1], v89, v81
	v_addc_co_u32_e64 v90, s[0:1], v90, v82, s[0:1]
	global_load_dwordx4 v[81:84], v[89:90], off
	global_load_dwordx4 v[85:88], v161, s[6:7] offset:1280
	v_mul_f64 v[89:90], v[2:3], v[10:11]
	v_mul_f64 v[10:11], v[0:1], v[10:11]
	v_fma_f64 v[4:5], v[4:5], v[12:13], v[91:92]
	v_fma_f64 v[6:7], v[6:7], v[12:13], -v[14:15]
	s_waitcnt vmcnt(15)
	v_mul_f64 v[93:94], v[18:19], v[26:27]
	v_mul_f64 v[26:27], v[16:17], v[26:27]
	v_fma_f64 v[0:1], v[0:1], v[8:9], v[89:90]
	v_fma_f64 v[2:3], v[2:3], v[8:9], -v[10:11]
	v_lshl_add_u32 v89, v255, 4, v161
	v_fma_f64 v[8:9], v[16:17], v[24:25], v[93:94]
	v_fma_f64 v[10:11], v[18:19], v[24:25], -v[26:27]
	ds_write_b128 v160, v[0:3]
	s_waitcnt vmcnt(14)
	v_mul_f64 v[0:1], v[22:23], v[30:31]
	v_mul_f64 v[2:3], v[20:21], v[30:31]
	ds_write_b128 v89, v[4:7] offset:128
	ds_write_b128 v89, v[8:11] offset:256
	v_fma_f64 v[0:1], v[20:21], v[28:29], v[0:1]
	v_fma_f64 v[2:3], v[22:23], v[28:29], -v[2:3]
	s_waitcnt vmcnt(11)
	v_mul_f64 v[4:5], v[34:35], v[42:43]
	v_mul_f64 v[6:7], v[32:33], v[42:43]
	s_waitcnt vmcnt(10)
	v_mul_f64 v[8:9], v[38:39], v[46:47]
	v_mul_f64 v[10:11], v[36:37], v[46:47]
	v_fma_f64 v[4:5], v[32:33], v[40:41], v[4:5]
	v_fma_f64 v[6:7], v[34:35], v[40:41], -v[6:7]
	v_fma_f64 v[8:9], v[36:37], v[44:45], v[8:9]
	v_fma_f64 v[10:11], v[38:39], v[44:45], -v[10:11]
	s_waitcnt vmcnt(7)
	v_mul_f64 v[12:13], v[50:51], v[58:59]
	v_mul_f64 v[14:15], v[48:49], v[58:59]
	s_waitcnt vmcnt(6)
	v_mul_f64 v[16:17], v[54:55], v[62:63]
	v_mul_f64 v[18:19], v[52:53], v[62:63]
	v_fma_f64 v[12:13], v[48:49], v[56:57], v[12:13]
	v_fma_f64 v[14:15], v[50:51], v[56:57], -v[14:15]
	;; [unrolled: 10-line block ×3, first 2 shown]
	s_waitcnt vmcnt(0)
	v_mul_f64 v[28:29], v[83:84], v[87:88]
	v_mul_f64 v[30:31], v[81:82], v[87:88]
	v_fma_f64 v[24:25], v[68:69], v[77:78], v[24:25]
	v_fma_f64 v[26:27], v[70:71], v[77:78], -v[26:27]
	v_fma_f64 v[28:29], v[81:82], v[85:86], v[28:29]
	v_fma_f64 v[30:31], v[83:84], v[85:86], -v[30:31]
	ds_write_b128 v89, v[0:3] offset:384
	ds_write_b128 v89, v[4:7] offset:512
	ds_write_b128 v89, v[8:11] offset:640
	ds_write_b128 v89, v[12:15] offset:768
	ds_write_b128 v89, v[16:19] offset:896
	ds_write_b128 v89, v[20:23] offset:1024
	ds_write_b128 v89, v[24:27] offset:1152
	ds_write_b128 v89, v[28:31] offset:1280
.LBB0_3:
	s_or_b64 exec, exec, s[14:15]
	s_load_dwordx2 s[0:1], s[4:5], 0x20
	s_load_dwordx2 s[8:9], s[4:5], 0x8
	v_lshlrev_b32_e32 v188, 4, v255
	s_waitcnt lgkmcnt(0)
	s_barrier
	s_waitcnt lgkmcnt(0)
                                        ; implicit-def: $vgpr12_vgpr13
                                        ; implicit-def: $vgpr16_vgpr17
                                        ; implicit-def: $vgpr20_vgpr21
                                        ; implicit-def: $vgpr32_vgpr33
                                        ; implicit-def: $vgpr44_vgpr45
                                        ; implicit-def: $vgpr48_vgpr49
                                        ; implicit-def: $vgpr52_vgpr53
                                        ; implicit-def: $vgpr40_vgpr41
                                        ; implicit-def: $vgpr36_vgpr37
                                        ; implicit-def: $vgpr28_vgpr29
                                        ; implicit-def: $vgpr24_vgpr25
	s_and_saveexec_b64 s[2:3], vcc
	s_cbranch_execz .LBB0_5
; %bb.4:
	v_lshl_add_u32 v0, v157, 4, v188
	ds_read_b128 v[12:15], v160
	ds_read_b128 v[24:27], v0 offset:128
	ds_read_b128 v[16:19], v0 offset:256
	;; [unrolled: 1-line block ×10, first 2 shown]
.LBB0_5:
	s_or_b64 exec, exec, s[2:3]
	s_waitcnt lgkmcnt(0)
	v_add_f64 v[79:80], v[26:27], -v[54:55]
	v_add_f64 v[74:75], v[24:25], -v[52:53]
	s_mov_b32 s4, 0xf8bb580b
	s_mov_b32 s5, 0xbfe14ced
	v_add_f64 v[72:73], v[52:53], v[24:25]
	v_add_f64 v[87:88], v[54:55], v[26:27]
	v_add_f64 v[95:96], v[18:19], -v[50:51]
	v_add_f64 v[93:94], v[16:17], -v[48:49]
	v_mul_f64 v[56:57], v[79:80], s[4:5]
	v_mul_f64 v[60:61], v[74:75], s[4:5]
	s_mov_b32 s2, 0x8764f0ba
	s_mov_b32 s14, 0x8eee2c13
	;; [unrolled: 1-line block ×4, first 2 shown]
	v_add_f64 v[85:86], v[16:17], v[48:49]
	v_add_f64 v[97:98], v[18:19], v[50:51]
	v_mul_f64 v[58:59], v[95:96], s[14:15]
	v_mul_f64 v[62:63], v[93:94], s[14:15]
	v_fma_f64 v[0:1], v[72:73], s[2:3], v[56:57]
	v_fma_f64 v[2:3], v[87:88], s[2:3], -v[60:61]
	v_add_f64 v[111:112], v[30:31], -v[46:47]
	v_add_f64 v[109:110], v[28:29], -v[44:45]
	s_mov_b32 s10, 0xd9c712b6
	s_mov_b32 s22, 0x43842ef
	;; [unrolled: 1-line block ×4, first 2 shown]
	v_fma_f64 v[4:5], v[85:86], s[10:11], v[58:59]
	v_fma_f64 v[6:7], v[97:98], s[10:11], -v[62:63]
	v_add_f64 v[0:1], v[12:13], v[0:1]
	v_add_f64 v[2:3], v[14:15], v[2:3]
	;; [unrolled: 1-line block ×4, first 2 shown]
	v_mul_f64 v[64:65], v[111:112], s[22:23]
	v_mul_f64 v[66:67], v[109:110], s[22:23]
	v_add_f64 v[123:124], v[38:39], -v[34:35]
	v_add_f64 v[121:122], v[36:37], -v[32:33]
	s_mov_b32 s18, 0x640f44db
	s_mov_b32 s24, 0xbb3a28a1
	;; [unrolled: 1-line block ×4, first 2 shown]
	v_add_f64 v[0:1], v[4:5], v[0:1]
	v_add_f64 v[2:3], v[6:7], v[2:3]
	v_fma_f64 v[4:5], v[101:102], s[18:19], v[64:65]
	v_fma_f64 v[6:7], v[117:118], s[18:19], -v[66:67]
	v_add_f64 v[107:108], v[32:33], v[36:37]
	v_add_f64 v[149:150], v[34:35], v[38:39]
	v_mul_f64 v[68:69], v[123:124], s[24:25]
	v_mul_f64 v[70:71], v[121:122], s[24:25]
	;; [unrolled: 1-line block ×6, first 2 shown]
	s_mov_b32 s20, 0x7f775887
	s_mov_b32 s26, 0xfd768dbf
	;; [unrolled: 1-line block ×4, first 2 shown]
	v_add_f64 v[0:1], v[4:5], v[0:1]
	v_add_f64 v[2:3], v[6:7], v[2:3]
	v_fma_f64 v[4:5], v[107:108], s[20:21], v[68:69]
	v_fma_f64 v[6:7], v[149:150], s[20:21], -v[70:71]
	v_fma_f64 v[8:9], v[72:73], s[10:11], v[81:82]
	v_mul_f64 v[89:90], v[95:96], s[24:25]
	v_fma_f64 v[10:11], v[87:88], s[10:11], -v[129:130]
	v_mul_f64 v[99:100], v[93:94], s[24:25]
	v_fma_f64 v[113:114], v[72:73], s[18:19], v[115:116]
	v_mul_f64 v[125:126], v[95:96], s[26:27]
	v_fma_f64 v[127:128], v[87:88], s[18:19], -v[151:152]
	v_mul_f64 v[153:154], v[93:94], s[26:27]
	s_mov_b32 s28, 0x9bcd5057
	s_mov_b32 s29, 0xbfeeb42a
	;; [unrolled: 1-line block ×4, first 2 shown]
	v_add_f64 v[0:1], v[4:5], v[0:1]
	v_add_f64 v[2:3], v[6:7], v[2:3]
	;; [unrolled: 1-line block ×3, first 2 shown]
	v_fma_f64 v[6:7], v[85:86], s[20:21], v[89:90]
	v_add_f64 v[8:9], v[14:15], v[10:11]
	v_fma_f64 v[10:11], v[97:98], s[20:21], -v[99:100]
	v_mul_f64 v[91:92], v[111:112], s[26:27]
	v_mul_f64 v[103:104], v[109:110], s[26:27]
	v_add_f64 v[113:114], v[12:13], v[113:114]
	v_fma_f64 v[133:134], v[85:86], s[28:29], v[125:126]
	v_add_f64 v[135:136], v[14:15], v[127:128]
	v_fma_f64 v[143:144], v[97:98], s[28:29], -v[153:154]
	v_mul_f64 v[127:128], v[111:112], s[34:35]
	v_mul_f64 v[141:142], v[109:110], s[34:35]
	s_mov_b32 s37, 0x3fefac9e
	s_mov_b32 s36, s22
	v_add_f64 v[139:140], v[22:23], -v[42:43]
	v_add_f64 v[137:138], v[20:21], -v[40:41]
	v_add_f64 v[4:5], v[6:7], v[4:5]
	v_add_f64 v[6:7], v[10:11], v[8:9]
	v_fma_f64 v[8:9], v[101:102], s[28:29], v[91:92]
	v_fma_f64 v[10:11], v[117:118], s[28:29], -v[103:104]
	v_mul_f64 v[105:106], v[123:124], s[36:37]
	v_mul_f64 v[119:120], v[121:122], s[36:37]
	v_add_f64 v[147:148], v[133:134], v[113:114]
	v_add_f64 v[143:144], v[143:144], v[135:136]
	v_fma_f64 v[175:176], v[101:102], s[10:11], v[127:128]
	v_fma_f64 v[177:178], v[117:118], s[10:11], -v[141:142]
	v_mul_f64 v[133:134], v[123:124], s[4:5]
	v_mul_f64 v[145:146], v[121:122], s[4:5]
	s_mov_b32 s31, 0xbfd207e7
	s_mov_b32 s30, s26
	;; [unrolled: 1-line block ×4, first 2 shown]
	v_add_f64 v[131:132], v[20:21], v[40:41]
	v_add_f64 v[155:156], v[22:23], v[42:43]
	v_mul_f64 v[77:78], v[139:140], s[30:31]
	v_mul_f64 v[83:84], v[137:138], s[30:31]
	v_add_f64 v[4:5], v[8:9], v[4:5]
	v_add_f64 v[6:7], v[10:11], v[6:7]
	v_fma_f64 v[8:9], v[107:108], s[18:19], v[105:106]
	v_fma_f64 v[10:11], v[149:150], s[18:19], -v[119:120]
	v_mul_f64 v[113:114], v[139:140], s[38:39]
	v_mul_f64 v[135:136], v[137:138], s[38:39]
	v_add_f64 v[175:176], v[175:176], v[147:148]
	v_add_f64 v[177:178], v[177:178], v[143:144]
	v_fma_f64 v[179:180], v[107:108], s[2:3], v[133:134]
	v_fma_f64 v[181:182], v[149:150], s[2:3], -v[145:146]
	v_mul_f64 v[143:144], v[139:140], s[24:25]
	v_mul_f64 v[147:148], v[137:138], s[24:25]
	v_fma_f64 v[171:172], v[131:132], s[28:29], v[77:78]
	v_fma_f64 v[173:174], v[155:156], s[28:29], -v[83:84]
	v_add_f64 v[4:5], v[8:9], v[4:5]
	v_add_f64 v[6:7], v[10:11], v[6:7]
	v_fma_f64 v[183:184], v[131:132], s[2:3], v[113:114]
	v_fma_f64 v[185:186], v[155:156], s[2:3], -v[135:136]
	v_add_f64 v[175:176], v[179:180], v[175:176]
	v_add_f64 v[177:178], v[181:182], v[177:178]
	;; [unrolled: 4-line block ×3, first 2 shown]
	v_add_f64 v[4:5], v[183:184], v[4:5]
	v_add_f64 v[6:7], v[185:186], v[6:7]
	v_mul_lo_u16_e32 v169, 11, v157
	v_add_f64 v[0:1], v[179:180], v[175:176]
	v_add_f64 v[2:3], v[181:182], v[177:178]
	s_barrier
	s_and_saveexec_b64 s[16:17], vcc
	s_cbranch_execz .LBB0_7
; %bb.6:
	v_mul_f64 v[173:174], v[87:88], s[28:29]
	v_mul_f64 v[175:176], v[79:80], s[30:31]
	;; [unrolled: 1-line block ×6, first 2 shown]
	s_mov_b32 s41, 0x3fe82f19
	s_mov_b32 s40, s24
	v_fma_f64 v[243:244], v[74:75], s[26:27], v[173:174]
	v_fma_f64 v[247:248], v[72:73], s[28:29], v[175:176]
	;; [unrolled: 1-line block ×3, first 2 shown]
	v_fma_f64 v[175:176], v[72:73], s[28:29], -v[175:176]
	buffer_store_dword v158, off, s[44:47], 0 ; 4-byte Folded Spill
	s_nop 0
	buffer_store_dword v159, off, s[44:47], 0 offset:4 ; 4-byte Folded Spill
	v_fma_f64 v[251:252], v[93:94], s[4:5], v[241:242]
	v_fma_f64 v[253:254], v[85:86], s[2:3], v[245:246]
	v_mul_f64 v[158:159], v[111:112], s[24:25]
	v_add_f64 v[243:244], v[14:15], v[243:244]
	v_add_f64 v[247:248], v[12:13], v[247:248]
	v_fma_f64 v[241:242], v[93:94], s[38:39], v[241:242]
	v_add_f64 v[173:174], v[14:15], v[173:174]
	v_fma_f64 v[245:246], v[85:86], s[2:3], -v[245:246]
	v_add_f64 v[175:176], v[12:13], v[175:176]
	v_mul_f64 v[171:172], v[149:150], s[10:11]
	v_fma_f64 v[249:250], v[109:110], s[40:41], v[237:238]
	v_add_f64 v[243:244], v[251:252], v[243:244]
	v_mul_f64 v[251:252], v[123:124], s[34:35]
	v_add_f64 v[247:248], v[253:254], v[247:248]
	v_fma_f64 v[253:254], v[101:102], s[20:21], v[158:159]
	v_fma_f64 v[237:238], v[109:110], s[24:25], v[237:238]
	v_add_f64 v[173:174], v[241:242], v[173:174]
	v_fma_f64 v[158:159], v[101:102], s[20:21], -v[158:159]
	v_add_f64 v[175:176], v[245:246], v[175:176]
	v_mul_f64 v[177:178], v[155:156], s[18:19]
	v_fma_f64 v[239:240], v[121:122], s[14:15], v[171:172]
	v_add_f64 v[241:242], v[249:250], v[243:244]
	v_mul_f64 v[243:244], v[139:140], s[22:23]
	v_mul_f64 v[181:182], v[87:88], s[2:3]
	v_add_f64 v[173:174], v[237:238], v[173:174]
	v_fma_f64 v[237:238], v[107:108], s[10:11], -v[251:252]
	v_add_f64 v[158:159], v[158:159], v[175:176]
	v_mul_f64 v[185:186], v[87:88], s[10:11]
	v_mul_f64 v[189:190], v[87:88], s[18:19]
	v_fma_f64 v[245:246], v[107:108], s[10:11], v[251:252]
	v_add_f64 v[247:248], v[253:254], v[247:248]
	v_fma_f64 v[171:172], v[121:122], s[34:35], v[171:172]
	v_fma_f64 v[175:176], v[137:138], s[36:37], v[177:178]
	v_add_f64 v[239:240], v[239:240], v[241:242]
	v_fma_f64 v[241:242], v[131:132], s[18:19], v[243:244]
	v_fma_f64 v[243:244], v[131:132], s[18:19], -v[243:244]
	v_add_f64 v[158:159], v[237:238], v[158:159]
	v_mul_f64 v[87:88], v[87:88], s[20:21]
	v_mul_f64 v[193:194], v[97:98], s[10:11]
	;; [unrolled: 1-line block ×4, first 2 shown]
	v_add_f64 v[245:246], v[245:246], v[247:248]
	v_add_f64 v[247:248], v[171:172], v[173:174]
	;; [unrolled: 1-line block ×3, first 2 shown]
	v_mul_f64 v[79:80], v[79:80], s[24:25]
	v_add_f64 v[175:176], v[243:244], v[158:159]
	v_mul_f64 v[97:98], v[97:98], s[18:19]
	v_fma_f64 v[158:159], v[74:75], s[24:25], v[87:88]
	v_mul_f64 v[205:206], v[117:118], s[18:19]
	v_mul_f64 v[209:210], v[117:118], s[28:29]
	;; [unrolled: 1-line block ×3, first 2 shown]
	v_add_f64 v[171:172], v[241:242], v[245:246]
	v_mul_f64 v[95:96], v[95:96], s[36:37]
	v_fma_f64 v[239:240], v[72:73], s[20:21], v[79:80]
	v_mul_f64 v[117:118], v[117:118], s[2:3]
	v_fma_f64 v[241:242], v[93:94], s[22:23], v[97:98]
	v_fma_f64 v[93:94], v[93:94], s[36:37], v[97:98]
	v_add_f64 v[97:98], v[14:15], v[158:159]
	v_mul_f64 v[203:204], v[72:73], s[2:3]
	v_mul_f64 v[183:184], v[72:73], s[10:11]
	;; [unrolled: 1-line block ×8, first 2 shown]
	v_fma_f64 v[158:159], v[85:86], s[18:19], v[95:96]
	v_add_f64 v[239:240], v[12:13], v[239:240]
	v_fma_f64 v[243:244], v[109:110], s[38:39], v[117:118]
	v_fma_f64 v[109:110], v[109:110], s[4:5], v[117:118]
	v_fma_f64 v[72:73], v[72:73], s[20:21], -v[79:80]
	v_add_f64 v[79:80], v[93:94], v[97:98]
	v_add_f64 v[26:27], v[14:15], v[26:27]
	;; [unrolled: 1-line block ×3, first 2 shown]
	v_mul_f64 v[191:192], v[85:86], s[10:11]
	v_mul_f64 v[195:196], v[85:86], s[20:21]
	;; [unrolled: 1-line block ×7, first 2 shown]
	v_fma_f64 v[74:75], v[74:75], s[40:41], v[87:88]
	v_fma_f64 v[87:88], v[121:122], s[26:27], v[149:150]
	v_mul_f64 v[93:94], v[123:124], s[30:31]
	v_fma_f64 v[97:98], v[101:102], s[2:3], v[111:112]
	v_add_f64 v[117:118], v[158:159], v[239:240]
	v_fma_f64 v[121:122], v[121:122], s[30:31], v[149:150]
	v_fma_f64 v[85:86], v[85:86], s[18:19], -v[95:96]
	v_add_f64 v[72:73], v[12:13], v[72:73]
	v_add_f64 v[79:80], v[109:110], v[79:80]
	;; [unrolled: 1-line block ×4, first 2 shown]
	v_mul_f64 v[215:216], v[101:102], s[18:19]
	v_mul_f64 v[207:208], v[101:102], s[28:29]
	;; [unrolled: 1-line block ×3, first 2 shown]
	v_fma_f64 v[109:110], v[107:108], s[28:29], v[93:94]
	v_add_f64 v[97:98], v[97:98], v[117:118]
	v_fma_f64 v[117:118], v[137:138], s[34:35], v[155:156]
	v_fma_f64 v[101:102], v[101:102], s[2:3], -v[111:112]
	v_add_f64 v[72:73], v[85:86], v[72:73]
	v_add_f64 v[79:80], v[121:122], v[79:80]
	;; [unrolled: 1-line block ×5, first 2 shown]
	v_mul_f64 v[227:228], v[107:108], s[20:21]
	v_mul_f64 v[219:220], v[107:108], s[18:19]
	;; [unrolled: 1-line block ×3, first 2 shown]
	v_add_f64 v[97:98], v[109:110], v[97:98]
	v_fma_f64 v[93:94], v[107:108], s[28:29], -v[93:94]
	v_add_f64 v[101:102], v[101:102], v[72:73]
	v_add_f64 v[72:73], v[117:118], v[79:80]
	;; [unrolled: 1-line block ×10, first 2 shown]
	v_add_f64 v[111:112], v[179:180], -v[115:116]
	v_add_f64 v[79:80], v[79:80], v[107:108]
	v_add_f64 v[107:108], v[14:15], v[109:110]
	;; [unrolled: 1-line block ×5, first 2 shown]
	v_add_f64 v[20:21], v[203:204], -v[56:57]
	v_add_f64 v[22:23], v[183:184], -v[81:82]
	;; [unrolled: 1-line block ×3, first 2 shown]
	v_add_f64 v[93:94], v[93:94], v[101:102]
	v_add_f64 v[101:102], v[141:142], v[213:214]
	;; [unrolled: 1-line block ×9, first 2 shown]
	v_add_f64 v[56:57], v[195:196], -v[89:90]
	v_add_f64 v[18:19], v[34:35], v[18:19]
	v_add_f64 v[34:35], v[70:71], v[217:218]
	;; [unrolled: 1-line block ×4, first 2 shown]
	v_add_f64 v[26:27], v[199:200], -v[125:126]
	v_add_f64 v[16:17], v[32:33], v[16:17]
	v_add_f64 v[42:43], v[215:216], -v[64:65]
	v_add_f64 v[20:21], v[58:59], v[20:21]
	v_add_f64 v[24:25], v[145:146], v[225:226]
	;; [unrolled: 1-line block ×5, first 2 shown]
	buffer_load_dword v14, off, s[44:47], 0 ; 4-byte Folded Reload
	buffer_load_dword v15, off, s[44:47], 0 offset:4 ; 4-byte Folded Reload
	v_add_f64 v[99:100], v[99:100], v[107:108]
	v_add_f64 v[22:23], v[207:208], -v[91:92]
	v_add_f64 v[12:13], v[56:57], v[12:13]
	v_add_f64 v[30:31], v[211:212], -v[127:128]
	v_add_f64 v[26:27], v[26:27], v[109:110]
	v_add_f64 v[74:75], v[241:242], v[74:75]
	;; [unrolled: 1-line block ×4, first 2 shown]
	v_add_f64 v[40:41], v[227:228], -v[68:69]
	v_add_f64 v[20:21], v[42:43], v[20:21]
	v_mul_f64 v[231:232], v[131:132], s[2:3]
	v_add_f64 v[24:25], v[24:25], v[79:80]
	v_add_f64 v[79:80], v[119:120], v[221:222]
	;; [unrolled: 1-line block ×3, first 2 shown]
	v_add_f64 v[32:33], v[219:220], -v[105:106]
	v_add_f64 v[12:13], v[22:23], v[12:13]
	v_mul_f64 v[235:236], v[131:132], s[20:21]
	v_add_f64 v[38:39], v[223:224], -v[133:134]
	v_add_f64 v[26:27], v[30:31], v[26:27]
	v_add_f64 v[74:75], v[243:244], v[74:75]
	v_mul_f64 v[95:96], v[139:140], s[34:35]
	v_add_f64 v[28:29], v[147:148], v[237:238]
	v_add_f64 v[46:47], v[50:51], v[18:19]
	;; [unrolled: 1-line block ×7, first 2 shown]
	v_add_f64 v[42:43], v[231:232], -v[113:114]
	v_add_f64 v[12:13], v[32:33], v[12:13]
	v_add_f64 v[36:37], v[235:236], -v[143:144]
	v_add_f64 v[32:33], v[38:39], v[26:27]
	v_add_f64 v[74:75], v[87:88], v[74:75]
	v_fma_f64 v[87:88], v[131:132], s[10:11], v[95:96]
	v_fma_f64 v[95:96], v[131:132], s[10:11], -v[95:96]
	v_fma_f64 v[177:178], v[137:138], s[22:23], v[177:178]
	v_fma_f64 v[85:86], v[137:138], s[14:15], v[155:156]
	v_add_f64 v[26:27], v[54:55], v[46:47]
	v_add_f64 v[22:23], v[22:23], v[34:35]
	;; [unrolled: 1-line block ×6, first 2 shown]
	s_waitcnt vmcnt(0)
	v_add_f64 v[44:45], v[14:15], -v[77:78]
	v_add_f64 v[14:15], v[28:29], v[24:25]
	v_add_f64 v[24:25], v[52:53], v[16:17]
	;; [unrolled: 1-line block ×5, first 2 shown]
	v_add_lshl_u32 v32, v255, v169, 4
	v_add_f64 v[20:21], v[44:45], v[20:21]
	ds_write_b128 v32, v[24:27]
	ds_write_b128 v32, v[20:23] offset:16
	ds_write_b128 v32, v[16:19] offset:32
	;; [unrolled: 1-line block ×10, first 2 shown]
.LBB0_7:
	s_or_b64 exec, exec, s[16:17]
	v_mov_b32_e32 v13, s9
	s_movk_i32 s4, 0x70
	v_mov_b32_e32 v12, s8
	v_mad_u64_u32 v[40:41], s[4:5], v157, s4, v[12:13]
	s_load_dwordx4 s[0:3], s[0:1], 0x0
	s_waitcnt lgkmcnt(0)
	s_barrier
	global_load_dwordx4 v[24:27], v[40:41], off
	global_load_dwordx4 v[20:23], v[40:41], off offset:16
	global_load_dwordx4 v[16:19], v[40:41], off offset:32
	global_load_dwordx4 v[12:15], v[40:41], off offset:48
	global_load_dwordx4 v[32:35], v[40:41], off offset:64
	global_load_dwordx4 v[36:39], v[40:41], off offset:80
	global_load_dwordx4 v[28:31], v[40:41], off offset:96
	v_add_lshl_u32 v90, v255, v157, 4
	ds_read_b128 v[40:43], v90
	ds_read_b128 v[44:47], v90 offset:176
	ds_read_b128 v[48:51], v90 offset:352
	;; [unrolled: 1-line block ×7, first 2 shown]
	s_mov_b32 s4, 0x667f3bcd
	s_mov_b32 s5, 0xbfe6a09e
	;; [unrolled: 1-line block ×4, first 2 shown]
	v_lshl_add_u32 v89, v157, 4, v188
	s_waitcnt vmcnt(6) lgkmcnt(6)
	v_mul_f64 v[72:73], v[46:47], v[26:27]
	v_mul_f64 v[74:75], v[44:45], v[26:27]
	s_waitcnt vmcnt(5) lgkmcnt(5)
	v_mul_f64 v[77:78], v[50:51], v[22:23]
	v_mul_f64 v[79:80], v[48:49], v[22:23]
	;; [unrolled: 3-line block ×7, first 2 shown]
	v_fma_f64 v[44:45], v[44:45], v[24:25], -v[72:73]
	v_fma_f64 v[46:47], v[46:47], v[24:25], v[74:75]
	v_fma_f64 v[48:49], v[48:49], v[20:21], -v[77:78]
	v_fma_f64 v[50:51], v[50:51], v[20:21], v[79:80]
	;; [unrolled: 2-line block ×7, first 2 shown]
	v_add_f64 v[56:57], v[40:41], -v[56:57]
	v_add_f64 v[58:59], v[42:43], -v[58:59]
	;; [unrolled: 1-line block ×8, first 2 shown]
	v_fma_f64 v[40:41], v[40:41], 2.0, -v[56:57]
	v_fma_f64 v[42:43], v[42:43], 2.0, -v[58:59]
	;; [unrolled: 1-line block ×6, first 2 shown]
	v_add_f64 v[72:73], v[56:57], -v[66:67]
	v_add_f64 v[74:75], v[58:59], v[64:65]
	v_fma_f64 v[52:53], v[52:53], 2.0, -v[68:69]
	v_fma_f64 v[54:55], v[54:55], 2.0, -v[70:71]
	v_add_f64 v[64:65], v[60:61], -v[70:71]
	v_add_f64 v[66:67], v[62:63], v[68:69]
	v_add_f64 v[77:78], v[40:41], -v[48:49]
	v_add_f64 v[79:80], v[42:43], -v[50:51]
	v_fma_f64 v[81:82], v[56:57], 2.0, -v[72:73]
	v_fma_f64 v[83:84], v[58:59], 2.0, -v[74:75]
	v_add_f64 v[48:49], v[44:45], -v[52:53]
	v_add_f64 v[50:51], v[46:47], -v[54:55]
	v_fma_f64 v[52:53], v[60:61], 2.0, -v[64:65]
	v_fma_f64 v[54:55], v[62:63], 2.0, -v[66:67]
	v_fma_f64 v[60:61], v[64:65], s[8:9], v[72:73]
	v_fma_f64 v[62:63], v[66:67], s[8:9], v[74:75]
	v_fma_f64 v[40:41], v[40:41], 2.0, -v[77:78]
	v_fma_f64 v[42:43], v[42:43], 2.0, -v[79:80]
	;; [unrolled: 1-line block ×4, first 2 shown]
	v_fma_f64 v[85:86], v[52:53], s[4:5], v[81:82]
	v_fma_f64 v[87:88], v[54:55], s[4:5], v[83:84]
	v_add_f64 v[56:57], v[77:78], -v[50:51]
	v_add_f64 v[58:59], v[79:80], v[48:49]
	v_fma_f64 v[68:69], v[66:67], s[4:5], v[60:61]
	v_fma_f64 v[70:71], v[64:65], s[8:9], v[62:63]
	v_add_f64 v[48:49], v[40:41], -v[44:45]
	v_add_f64 v[50:51], v[42:43], -v[46:47]
	v_fma_f64 v[64:65], v[54:55], s[4:5], v[85:86]
	v_fma_f64 v[66:67], v[52:53], s[8:9], v[87:88]
	v_fma_f64 v[44:45], v[77:78], 2.0, -v[56:57]
	v_fma_f64 v[46:47], v[79:80], 2.0, -v[58:59]
	;; [unrolled: 1-line block ×8, first 2 shown]
	ds_write_b128 v89, v[56:59] offset:1056
	ds_write_b128 v89, v[68:71] offset:1232
	;; [unrolled: 1-line block ×6, first 2 shown]
	ds_write_b128 v89, v[40:43]
	ds_write_b128 v89, v[52:55] offset:176
	s_waitcnt lgkmcnt(0)
	s_barrier
	s_and_saveexec_b64 s[4:5], vcc
	s_cbranch_execz .LBB0_9
; %bb.8:
	global_load_dwordx4 v[72:75], v161, s[6:7] offset:1408
	s_add_u32 s8, s6, 0x580
	s_addc_u32 s9, s7, 0
	global_load_dwordx4 v[77:80], v161, s[8:9] offset:128
	global_load_dwordx4 v[81:84], v161, s[8:9] offset:256
	;; [unrolled: 1-line block ×10, first 2 shown]
	ds_read_b128 v[119:122], v160
	s_waitcnt vmcnt(10) lgkmcnt(0)
	v_mul_f64 v[123:124], v[121:122], v[74:75]
	v_mul_f64 v[74:75], v[119:120], v[74:75]
	v_fma_f64 v[119:120], v[119:120], v[72:73], -v[123:124]
	v_fma_f64 v[121:122], v[121:122], v[72:73], v[74:75]
	ds_write_b128 v160, v[119:122]
	ds_read_b128 v[72:75], v89 offset:128
	ds_read_b128 v[119:122], v89 offset:256
	;; [unrolled: 1-line block ×10, first 2 shown]
	s_waitcnt vmcnt(9) lgkmcnt(9)
	v_mul_f64 v[155:156], v[74:75], v[79:80]
	v_mul_f64 v[79:80], v[72:73], v[79:80]
	s_waitcnt vmcnt(8) lgkmcnt(8)
	v_mul_f64 v[158:159], v[121:122], v[83:84]
	v_mul_f64 v[83:84], v[119:120], v[83:84]
	;; [unrolled: 3-line block ×10, first 2 shown]
	v_fma_f64 v[72:73], v[72:73], v[77:78], -v[155:156]
	v_fma_f64 v[74:75], v[74:75], v[77:78], v[79:80]
	v_fma_f64 v[77:78], v[119:120], v[81:82], -v[158:159]
	v_fma_f64 v[79:80], v[121:122], v[81:82], v[83:84]
	;; [unrolled: 2-line block ×10, first 2 shown]
	ds_write_b128 v89, v[72:75] offset:128
	ds_write_b128 v89, v[77:80] offset:256
	;; [unrolled: 1-line block ×10, first 2 shown]
.LBB0_9:
	s_or_b64 exec, exec, s[4:5]
	s_waitcnt lgkmcnt(0)
	s_barrier
	s_and_saveexec_b64 s[4:5], vcc
	s_cbranch_execz .LBB0_11
; %bb.10:
	ds_read_b128 v[40:43], v160
	ds_read_b128 v[52:55], v89 offset:128
	ds_read_b128 v[44:47], v89 offset:256
	;; [unrolled: 1-line block ×10, first 2 shown]
.LBB0_11:
	s_or_b64 exec, exec, s[4:5]
	s_waitcnt lgkmcnt(0)
	s_barrier
	s_and_saveexec_b64 s[4:5], vcc
	s_cbranch_execz .LBB0_13
; %bb.12:
	v_add_f64 v[111:112], v[52:53], -v[8:9]
	v_add_f64 v[115:116], v[54:55], -v[10:11]
	s_mov_b32 s22, 0xfd768dbf
	s_mov_b32 s23, 0xbfd207e7
	v_add_f64 v[113:114], v[44:45], -v[4:5]
	v_add_f64 v[117:118], v[10:11], v[54:55]
	v_add_f64 v[119:120], v[46:47], -v[6:7]
	v_add_f64 v[121:122], v[8:9], v[52:53]
	v_mul_f64 v[93:94], v[111:112], s[22:23]
	v_mul_f64 v[97:98], v[115:116], s[22:23]
	s_mov_b32 s28, 0xf8bb580b
	s_mov_b32 s20, 0x9bcd5057
	;; [unrolled: 1-line block ×4, first 2 shown]
	v_add_f64 v[87:88], v[60:61], -v[0:1]
	v_mul_f64 v[95:96], v[113:114], s[28:29]
	v_add_f64 v[123:124], v[46:47], v[6:7]
	v_fma_f64 v[99:100], v[117:118], s[20:21], v[93:94]
	v_add_f64 v[125:126], v[62:63], -v[2:3]
	v_add_f64 v[127:128], v[44:45], v[4:5]
	v_mul_f64 v[101:102], v[119:120], s[28:29]
	v_fma_f64 v[103:104], v[121:122], s[20:21], -v[97:98]
	s_mov_b32 s18, 0xbb3a28a1
	s_mov_b32 s24, 0x8764f0ba
	;; [unrolled: 1-line block ×4, first 2 shown]
	v_add_f64 v[85:86], v[48:49], -v[68:69]
	v_mul_f64 v[74:75], v[87:88], s[18:19]
	v_add_f64 v[83:84], v[2:3], v[62:63]
	v_fma_f64 v[105:106], v[123:124], s[24:25], v[95:96]
	v_add_f64 v[99:100], v[42:43], v[99:100]
	v_add_f64 v[129:130], v[50:51], -v[70:71]
	v_add_f64 v[131:132], v[0:1], v[60:61]
	v_mul_f64 v[107:108], v[125:126], s[18:19]
	v_fma_f64 v[109:110], v[127:128], s[24:25], -v[101:102]
	v_add_f64 v[103:104], v[40:41], v[103:104]
	s_mov_b32 s16, 0x7f775887
	s_mov_b32 s11, 0x3fed1bb4
	;; [unrolled: 1-line block ×4, first 2 shown]
	v_add_f64 v[79:80], v[64:65], -v[56:57]
	v_mul_f64 v[72:73], v[85:86], s[10:11]
	v_add_f64 v[81:82], v[70:71], v[50:51]
	v_fma_f64 v[133:134], v[83:84], s[16:17], v[74:75]
	v_fma_f64 v[93:94], v[117:118], s[20:21], -v[93:94]
	v_add_f64 v[99:100], v[105:106], v[99:100]
	v_add_f64 v[135:136], v[66:67], -v[58:59]
	v_add_f64 v[137:138], v[68:69], v[48:49]
	v_mul_f64 v[105:106], v[129:130], s[10:11]
	v_fma_f64 v[139:140], v[131:132], s[16:17], -v[107:108]
	v_add_f64 v[103:104], v[109:110], v[103:104]
	s_mov_b32 s8, 0x43842ef
	s_mov_b32 s14, 0xd9c712b6
	;; [unrolled: 1-line block ×4, first 2 shown]
	v_add_f64 v[77:78], v[66:67], v[58:59]
	v_mul_f64 v[91:92], v[79:80], s[8:9]
	v_fma_f64 v[95:96], v[123:124], s[24:25], -v[95:96]
	v_add_f64 v[93:94], v[42:43], v[93:94]
	v_fma_f64 v[109:110], v[81:82], s[14:15], v[72:73]
	v_add_f64 v[99:100], v[133:134], v[99:100]
	v_add_f64 v[133:134], v[64:65], v[56:57]
	v_mul_f64 v[141:142], v[135:136], s[8:9]
	v_fma_f64 v[143:144], v[137:138], s[14:15], -v[105:106]
	v_add_f64 v[103:104], v[139:140], v[103:104]
	s_mov_b32 s26, 0x640f44db
	s_mov_b32 s27, 0xbfc2375f
	v_fma_f64 v[74:75], v[83:84], s[16:17], -v[74:75]
	v_add_f64 v[93:94], v[95:96], v[93:94]
	v_fma_f64 v[95:96], v[77:78], s[26:27], v[91:92]
	v_add_f64 v[99:100], v[109:110], v[99:100]
	v_fma_f64 v[109:110], v[133:134], s[26:27], -v[141:142]
	v_add_f64 v[103:104], v[143:144], v[103:104]
	v_fma_f64 v[139:140], v[81:82], s[14:15], -v[72:73]
	v_fma_f64 v[97:98], v[121:122], s[20:21], v[97:98]
	s_mov_b32 s35, 0x3fefac9e
	v_add_f64 v[93:94], v[74:75], v[93:94]
	s_mov_b32 s34, s8
	v_add_f64 v[74:75], v[95:96], v[99:100]
	v_mul_f64 v[99:100], v[111:112], s[18:19]
	v_add_f64 v[72:73], v[109:110], v[103:104]
	v_fma_f64 v[103:104], v[131:132], s[16:17], v[107:108]
	v_mul_f64 v[107:108], v[115:116], s[18:19]
	v_fma_f64 v[95:96], v[133:134], s[26:27], v[141:142]
	v_add_f64 v[93:94], v[139:140], v[93:94]
	v_fma_f64 v[101:102], v[127:128], s[24:25], v[101:102]
	v_mul_f64 v[109:110], v[113:114], s[34:35]
	v_fma_f64 v[139:140], v[117:118], s[16:17], v[99:100]
	v_add_f64 v[97:98], v[40:41], v[97:98]
	v_mul_f64 v[141:142], v[119:120], s[34:35]
	v_fma_f64 v[143:144], v[121:122], s[16:17], -v[107:108]
	s_mov_b32 s31, 0xbfe14ced
	s_mov_b32 s30, s28
	v_mul_f64 v[145:146], v[87:88], s[30:31]
	v_fma_f64 v[147:148], v[123:124], s[26:27], v[109:110]
	v_add_f64 v[139:140], v[42:43], v[139:140]
	v_add_f64 v[97:98], v[101:102], v[97:98]
	v_fma_f64 v[101:102], v[137:138], s[14:15], v[105:106]
	v_mul_f64 v[105:106], v[125:126], s[30:31]
	v_fma_f64 v[149:150], v[127:128], s[26:27], -v[141:142]
	v_add_f64 v[143:144], v[40:41], v[143:144]
	v_mul_f64 v[151:152], v[85:86], s[22:23]
	v_fma_f64 v[153:154], v[83:84], s[24:25], v[145:146]
	v_add_f64 v[139:140], v[147:148], v[139:140]
	v_add_f64 v[97:98], v[103:104], v[97:98]
	v_fma_f64 v[99:100], v[117:118], s[16:17], -v[99:100]
	v_mul_f64 v[103:104], v[129:130], s[22:23]
	v_fma_f64 v[147:148], v[131:132], s[24:25], -v[105:106]
	v_add_f64 v[143:144], v[149:150], v[143:144]
	v_mul_f64 v[149:150], v[79:80], s[10:11]
	v_fma_f64 v[155:156], v[81:82], s[20:21], v[151:152]
	v_add_f64 v[139:140], v[153:154], v[139:140]
	v_fma_f64 v[109:110], v[123:124], s[26:27], -v[109:110]
	v_add_f64 v[99:100], v[42:43], v[99:100]
	v_mul_f64 v[153:154], v[135:136], s[10:11]
	v_fma_f64 v[158:159], v[137:138], s[20:21], -v[103:104]
	v_add_f64 v[143:144], v[147:148], v[143:144]
	v_fma_f64 v[107:108], v[121:122], s[16:17], v[107:108]
	v_fma_f64 v[91:92], v[77:78], s[26:27], -v[91:92]
	v_add_f64 v[97:98], v[101:102], v[97:98]
	v_fma_f64 v[101:102], v[77:78], s[14:15], v[149:150]
	v_add_f64 v[99:100], v[109:110], v[99:100]
	v_add_f64 v[109:110], v[155:156], v[139:140]
	v_fma_f64 v[139:140], v[133:134], s[14:15], -v[153:154]
	v_add_f64 v[143:144], v[158:159], v[143:144]
	v_fma_f64 v[141:142], v[127:128], s[26:27], v[141:142]
	v_add_f64 v[107:108], v[40:41], v[107:108]
	v_fma_f64 v[145:146], v[83:84], s[24:25], -v[145:146]
	v_add_f64 v[93:94], v[91:92], v[93:94]
	v_add_f64 v[91:92], v[95:96], v[97:98]
	;; [unrolled: 1-line block ×3, first 2 shown]
	v_fma_f64 v[105:106], v[131:132], s[24:25], v[105:106]
	v_add_f64 v[95:96], v[139:140], v[143:144]
	v_mul_f64 v[109:110], v[111:112], s[8:9]
	v_add_f64 v[107:108], v[141:142], v[107:108]
	v_mul_f64 v[139:140], v[115:116], s[8:9]
	s_mov_b32 s37, 0x3fd207e7
	s_mov_b32 s36, s22
	v_fma_f64 v[147:148], v[81:82], s[20:21], -v[151:152]
	v_add_f64 v[99:100], v[145:146], v[99:100]
	v_fma_f64 v[103:104], v[137:138], s[20:21], v[103:104]
	v_mul_f64 v[141:142], v[113:114], s[36:37]
	v_fma_f64 v[143:144], v[117:118], s[26:27], v[109:110]
	v_add_f64 v[105:106], v[105:106], v[107:108]
	v_mul_f64 v[107:108], v[119:120], s[36:37]
	v_fma_f64 v[145:146], v[121:122], s[26:27], -v[139:140]
	v_fma_f64 v[101:102], v[77:78], s[14:15], -v[149:150]
	v_add_f64 v[99:100], v[147:148], v[99:100]
	v_mul_f64 v[147:148], v[87:88], s[10:11]
	v_fma_f64 v[149:150], v[123:124], s[20:21], v[141:142]
	v_add_f64 v[143:144], v[42:43], v[143:144]
	v_add_f64 v[103:104], v[103:104], v[105:106]
	v_mul_f64 v[151:152], v[125:126], s[10:11]
	v_fma_f64 v[105:106], v[117:118], s[26:27], -v[109:110]
	v_fma_f64 v[109:110], v[127:128], s[20:21], -v[107:108]
	v_add_f64 v[145:146], v[40:41], v[145:146]
	v_add_f64 v[101:102], v[101:102], v[99:100]
	v_fma_f64 v[99:100], v[133:134], s[14:15], v[153:154]
	v_mul_f64 v[153:154], v[85:86], s[30:31]
	v_fma_f64 v[155:156], v[83:84], s[14:15], v[147:148]
	v_add_f64 v[143:144], v[149:150], v[143:144]
	v_mul_f64 v[149:150], v[129:130], s[30:31]
	v_fma_f64 v[141:142], v[123:124], s[20:21], -v[141:142]
	v_add_f64 v[105:106], v[42:43], v[105:106]
	v_fma_f64 v[158:159], v[131:132], s[14:15], -v[151:152]
	v_add_f64 v[109:110], v[109:110], v[145:146]
	v_mul_f64 v[145:146], v[79:80], s[18:19]
	v_fma_f64 v[170:171], v[81:82], s[24:25], v[153:154]
	v_add_f64 v[143:144], v[155:156], v[143:144]
	v_mul_f64 v[155:156], v[135:136], s[18:19]
	v_fma_f64 v[147:148], v[83:84], s[14:15], -v[147:148]
	v_add_f64 v[105:106], v[141:142], v[105:106]
	v_fma_f64 v[141:142], v[137:138], s[24:25], -v[149:150]
	v_add_f64 v[109:110], v[158:159], v[109:110]
	v_fma_f64 v[139:140], v[121:122], s[26:27], v[139:140]
	v_add_f64 v[99:100], v[99:100], v[103:104]
	v_fma_f64 v[103:104], v[77:78], s[16:17], v[145:146]
	v_add_f64 v[143:144], v[170:171], v[143:144]
	v_fma_f64 v[153:154], v[81:82], s[24:25], -v[153:154]
	v_add_f64 v[105:106], v[147:148], v[105:106]
	v_fma_f64 v[147:148], v[133:134], s[16:17], -v[155:156]
	v_add_f64 v[109:110], v[141:142], v[109:110]
	v_fma_f64 v[107:108], v[127:128], s[20:21], v[107:108]
	v_add_f64 v[139:140], v[40:41], v[139:140]
	s_mov_b32 s11, 0xbfed1bb4
	v_fma_f64 v[141:142], v[77:78], s[16:17], -v[145:146]
	v_mul_f64 v[145:146], v[111:112], s[10:11]
	v_add_f64 v[153:154], v[153:154], v[105:106]
	v_add_f64 v[105:106], v[103:104], v[143:144]
	;; [unrolled: 1-line block ×3, first 2 shown]
	v_fma_f64 v[147:148], v[131:132], s[14:15], v[151:152]
	v_add_f64 v[107:108], v[107:108], v[139:140]
	v_mul_f64 v[143:144], v[115:116], s[10:11]
	v_fma_f64 v[139:140], v[137:138], s[24:25], v[149:150]
	v_add_f64 v[54:55], v[42:43], v[54:55]
	v_add_f64 v[52:53], v[40:41], v[52:53]
	v_mul_f64 v[151:152], v[113:114], s[18:19]
	v_add_f64 v[109:110], v[141:142], v[153:154]
	v_mul_f64 v[141:142], v[119:120], s[18:19]
	v_add_f64 v[107:108], v[147:148], v[107:108]
	v_fma_f64 v[149:150], v[121:122], s[14:15], -v[143:144]
	v_mul_f64 v[153:154], v[87:88], s[36:37]
	v_add_f64 v[46:47], v[46:47], v[54:55]
	v_add_f64 v[52:53], v[44:45], v[52:53]
	v_fma_f64 v[170:171], v[123:124], s[16:17], v[151:152]
	v_fma_f64 v[151:152], v[123:124], s[16:17], -v[151:152]
	v_fma_f64 v[172:173], v[127:128], s[16:17], -v[141:142]
	v_add_f64 v[107:108], v[139:140], v[107:108]
	v_fma_f64 v[139:140], v[117:118], s[14:15], -v[145:146]
	v_add_f64 v[149:150], v[40:41], v[149:150]
	v_add_f64 v[46:47], v[62:63], v[46:47]
	;; [unrolled: 1-line block ×3, first 2 shown]
	v_fma_f64 v[147:148], v[133:134], s[16:17], v[155:156]
	v_fma_f64 v[176:177], v[83:84], s[20:21], v[153:154]
	v_fma_f64 v[153:154], v[83:84], s[20:21], -v[153:154]
	v_fma_f64 v[143:144], v[121:122], s[14:15], v[143:144]
	v_add_f64 v[139:140], v[42:43], v[139:140]
	v_add_f64 v[149:150], v[172:173], v[149:150]
	v_mul_f64 v[172:173], v[79:80], s[28:29]
	v_mul_f64 v[111:112], v[111:112], s[30:31]
	v_fma_f64 v[158:159], v[117:118], s[14:15], v[145:146]
	v_add_f64 v[46:47], v[50:51], v[46:47]
	v_add_f64 v[48:49], v[48:49], v[52:53]
	;; [unrolled: 1-line block ×4, first 2 shown]
	v_fma_f64 v[141:142], v[127:128], s[16:17], v[141:142]
	v_fma_f64 v[147:148], v[77:78], s[24:25], v[172:173]
	v_add_f64 v[143:144], v[40:41], v[143:144]
	v_mul_f64 v[113:114], v[113:114], s[10:11]
	v_mul_f64 v[50:51], v[115:116], s[30:31]
	v_add_f64 v[158:159], v[42:43], v[158:159]
	v_mul_f64 v[155:156], v[125:126], s[36:37]
	v_add_f64 v[139:140], v[153:154], v[139:140]
	v_fma_f64 v[153:154], v[77:78], s[24:25], -v[172:173]
	v_fma_f64 v[172:173], v[117:118], s[24:25], v[111:112]
	v_add_f64 v[46:47], v[66:67], v[46:47]
	v_add_f64 v[48:49], v[64:65], v[48:49]
	;; [unrolled: 1-line block ×3, first 2 shown]
	v_mul_f64 v[87:88], v[87:88], s[8:9]
	v_fma_f64 v[54:55], v[123:124], s[14:15], v[113:114]
	v_fma_f64 v[111:112], v[117:118], s[24:25], -v[111:112]
	v_mul_f64 v[115:116], v[119:120], s[10:11]
	v_add_f64 v[143:144], v[42:43], v[172:173]
	v_fma_f64 v[64:65], v[121:122], s[24:25], v[50:51]
	v_fma_f64 v[50:51], v[121:122], s[24:25], -v[50:51]
	v_mul_f64 v[174:175], v[85:86], s[34:35]
	v_add_f64 v[158:159], v[170:171], v[158:159]
	v_fma_f64 v[170:171], v[131:132], s[20:21], -v[155:156]
	v_add_f64 v[46:47], v[58:59], v[46:47]
	v_add_f64 v[48:49], v[56:57], v[48:49]
	v_fma_f64 v[60:61], v[83:84], s[26:27], v[87:88]
	v_add_f64 v[54:55], v[54:55], v[143:144]
	v_mul_f64 v[66:67], v[125:126], s[8:9]
	v_fma_f64 v[113:114], v[123:124], s[14:15], -v[113:114]
	v_add_f64 v[42:43], v[42:43], v[111:112]
	v_fma_f64 v[111:112], v[127:128], s[14:15], v[115:116]
	v_add_f64 v[56:57], v[40:41], v[64:65]
	v_fma_f64 v[58:59], v[127:128], s[14:15], -v[115:116]
	v_add_f64 v[40:41], v[40:41], v[50:51]
	v_mul_f64 v[145:146], v[129:130], s[34:35]
	v_add_f64 v[149:150], v[170:171], v[149:150]
	v_fma_f64 v[170:171], v[81:82], s[26:27], -v[174:175]
	v_fma_f64 v[155:156], v[131:132], s[20:21], v[155:156]
	v_add_f64 v[46:47], v[70:71], v[46:47]
	v_add_f64 v[48:49], v[68:69], v[48:49]
	v_mul_f64 v[85:86], v[85:86], s[18:19]
	v_add_f64 v[52:53], v[60:61], v[54:55]
	v_mul_f64 v[60:61], v[129:130], s[18:19]
	v_fma_f64 v[50:51], v[83:84], s[26:27], -v[87:88]
	v_add_f64 v[42:43], v[113:114], v[42:43]
	v_fma_f64 v[64:65], v[131:132], s[26:27], v[66:67]
	v_add_f64 v[56:57], v[111:112], v[56:57]
	v_fma_f64 v[66:67], v[131:132], s[26:27], -v[66:67]
	v_add_f64 v[40:41], v[58:59], v[40:41]
	v_fma_f64 v[180:181], v[137:138], s[26:27], -v[145:146]
	v_add_f64 v[139:140], v[170:171], v[139:140]
	v_fma_f64 v[145:146], v[137:138], s[26:27], v[145:146]
	v_add_f64 v[141:142], v[155:156], v[141:142]
	v_add_f64 v[2:3], v[2:3], v[46:47]
	;; [unrolled: 1-line block ×3, first 2 shown]
	v_mul_f64 v[79:80], v[79:80], s[22:23]
	v_mul_f64 v[54:55], v[135:136], s[22:23]
	v_fma_f64 v[58:59], v[81:82], s[16:17], -v[85:86]
	v_add_f64 v[42:43], v[50:51], v[42:43]
	v_fma_f64 v[50:51], v[137:138], s[16:17], v[60:61]
	v_add_f64 v[46:47], v[64:65], v[56:57]
	v_add_f64 v[158:159], v[176:177], v[158:159]
	v_mul_f64 v[176:177], v[135:136], s[28:29]
	v_fma_f64 v[48:49], v[137:138], s[16:17], -v[60:61]
	v_add_f64 v[40:41], v[66:67], v[40:41]
	v_fma_f64 v[178:179], v[81:82], s[26:27], v[174:175]
	v_add_f64 v[44:45], v[153:154], v[139:140]
	v_add_f64 v[139:140], v[145:146], v[141:142]
	v_fma_f64 v[141:142], v[81:82], s[16:17], v[85:86]
	v_add_f64 v[6:7], v[6:7], v[2:3]
	v_add_f64 v[0:1], v[4:5], v[0:1]
	v_fma_f64 v[56:57], v[77:78], s[20:21], -v[79:80]
	v_add_f64 v[42:43], v[58:59], v[42:43]
	v_fma_f64 v[58:59], v[133:134], s[20:21], v[54:55]
	v_add_f64 v[46:47], v[50:51], v[46:47]
	v_fma_f64 v[62:63], v[133:134], s[24:25], v[176:177]
	v_fma_f64 v[54:55], v[133:134], s[20:21], -v[54:55]
	v_add_f64 v[40:41], v[48:49], v[40:41]
	v_add_f64 v[151:152], v[178:179], v[158:159]
	v_fma_f64 v[158:159], v[133:134], s[24:25], -v[176:177]
	v_add_f64 v[149:150], v[180:181], v[149:150]
	v_fma_f64 v[50:51], v[77:78], s[20:21], v[79:80]
	v_add_f64 v[52:53], v[141:142], v[52:53]
	v_add_f64 v[6:7], v[10:11], v[6:7]
	;; [unrolled: 1-line block ×7, first 2 shown]
	v_lshl_add_u32 v40, v169, 4, v188
	v_add_f64 v[10:11], v[147:148], v[151:152]
	v_add_f64 v[8:9], v[158:159], v[149:150]
	;; [unrolled: 1-line block ×3, first 2 shown]
	ds_write_b128 v40, v[4:7]
	ds_write_b128 v40, v[0:3] offset:16
	ds_write_b128 v40, v[42:45] offset:32
	;; [unrolled: 1-line block ×10, first 2 shown]
.LBB0_13:
	s_or_b64 exec, exec, s[4:5]
	s_waitcnt lgkmcnt(0)
	s_barrier
	ds_read_b128 v[0:3], v90
	ds_read_b128 v[4:7], v90 offset:176
	ds_read_b128 v[8:11], v90 offset:352
	;; [unrolled: 1-line block ×5, first 2 shown]
	s_waitcnt lgkmcnt(4)
	v_mul_f64 v[60:61], v[26:27], v[6:7]
	v_mul_f64 v[26:27], v[26:27], v[4:5]
	s_waitcnt lgkmcnt(3)
	v_mul_f64 v[62:63], v[22:23], v[10:11]
	v_mul_f64 v[22:23], v[22:23], v[8:9]
	;; [unrolled: 3-line block ×3, first 2 shown]
	ds_read_b128 v[52:55], v90 offset:1056
	ds_read_b128 v[56:59], v90 offset:1232
	s_mov_b32 s4, 0x667f3bcd
	v_fma_f64 v[4:5], v[24:25], v[4:5], v[60:61]
	v_fma_f64 v[6:7], v[24:25], v[6:7], -v[26:27]
	v_fma_f64 v[8:9], v[20:21], v[8:9], v[62:63]
	v_fma_f64 v[10:11], v[20:21], v[10:11], -v[22:23]
	v_fma_f64 v[20:21], v[16:17], v[40:41], v[64:65]
	v_fma_f64 v[16:17], v[16:17], v[42:43], -v[18:19]
	s_waitcnt lgkmcnt(3)
	v_mul_f64 v[18:19], v[14:15], v[46:47]
	v_mul_f64 v[14:15], v[14:15], v[44:45]
	s_waitcnt lgkmcnt(1)
	v_mul_f64 v[22:23], v[38:39], v[54:55]
	v_mul_f64 v[24:25], v[38:39], v[52:53]
	;; [unrolled: 1-line block ×4, first 2 shown]
	s_waitcnt lgkmcnt(0)
	v_mul_f64 v[38:39], v[30:31], v[58:59]
	v_mul_f64 v[30:31], v[30:31], v[56:57]
	v_fma_f64 v[18:19], v[12:13], v[44:45], v[18:19]
	v_fma_f64 v[12:13], v[12:13], v[46:47], -v[14:15]
	v_fma_f64 v[14:15], v[36:37], v[52:53], v[22:23]
	v_fma_f64 v[22:23], v[36:37], v[54:55], -v[24:25]
	;; [unrolled: 2-line block ×4, first 2 shown]
	v_add_f64 v[18:19], v[0:1], -v[18:19]
	v_add_f64 v[12:13], v[2:3], -v[12:13]
	;; [unrolled: 1-line block ×8, first 2 shown]
	v_fma_f64 v[0:1], v[0:1], 2.0, -v[18:19]
	v_fma_f64 v[2:3], v[2:3], 2.0, -v[12:13]
	;; [unrolled: 1-line block ×8, first 2 shown]
	v_add_f64 v[32:33], v[18:19], v[22:23]
	v_add_f64 v[34:35], v[12:13], -v[14:15]
	v_add_f64 v[14:15], v[24:25], v[28:29]
	v_add_f64 v[22:23], v[26:27], -v[30:31]
	v_add_f64 v[28:29], v[0:1], -v[8:9]
	;; [unrolled: 1-line block ×5, first 2 shown]
	v_fma_f64 v[20:21], v[18:19], 2.0, -v[32:33]
	v_fma_f64 v[36:37], v[12:13], 2.0, -v[34:35]
	;; [unrolled: 1-line block ×8, first 2 shown]
	s_mov_b32 s5, 0xbfe6a09e
	s_mov_b32 s9, 0x3fe6a09e
	v_fma_f64 v[4:5], v[12:13], s[4:5], v[20:21]
	v_fma_f64 v[6:7], v[16:17], s[4:5], v[36:37]
	s_mov_b32 s8, s4
	v_fma_f64 v[26:27], v[14:15], s[8:9], v[32:33]
	v_fma_f64 v[38:39], v[22:23], s[8:9], v[34:35]
	v_add_f64 v[0:1], v[18:19], -v[0:1]
	v_add_f64 v[2:3], v[24:25], -v[2:3]
	v_add_f64 v[8:9], v[28:29], v[8:9]
	v_fma_f64 v[4:5], v[16:17], s[8:9], v[4:5]
	v_fma_f64 v[6:7], v[12:13], s[4:5], v[6:7]
	v_add_f64 v[10:11], v[30:31], -v[10:11]
	v_fma_f64 v[12:13], v[22:23], s[8:9], v[26:27]
	v_fma_f64 v[14:15], v[14:15], s[4:5], v[38:39]
	v_fma_f64 v[16:17], v[18:19], 2.0, -v[0:1]
	v_fma_f64 v[18:19], v[24:25], 2.0, -v[2:3]
	;; [unrolled: 1-line block ×8, first 2 shown]
	ds_write_b128 v89, v[16:19]
	ds_write_b128 v89, v[20:23] offset:176
	ds_write_b128 v89, v[24:27] offset:352
	;; [unrolled: 1-line block ×7, first 2 shown]
	s_waitcnt lgkmcnt(0)
	s_barrier
	s_and_b64 exec, exec, vcc
	s_cbranch_execz .LBB0_15
; %bb.14:
	global_load_dwordx4 v[0:3], v161, s[6:7]
	global_load_dwordx4 v[4:7], v161, s[6:7] offset:128
	global_load_dwordx4 v[8:11], v161, s[6:7] offset:256
	;; [unrolled: 1-line block ×4, first 2 shown]
	ds_read_b128 v[20:23], v160
	ds_read_b128 v[24:27], v89 offset:128
	ds_read_b128 v[28:31], v89 offset:256
	;; [unrolled: 1-line block ×4, first 2 shown]
	global_load_dwordx4 v[40:43], v161, s[6:7] offset:640
	global_load_dwordx4 v[44:47], v161, s[6:7] offset:768
	;; [unrolled: 1-line block ×4, first 2 shown]
	v_mad_u64_u32 v[56:57], s[4:5], s2, v76, 0
	v_mad_u64_u32 v[58:59], s[8:9], s0, v157, 0
	;; [unrolled: 1-line block ×8, first 2 shown]
	v_mov_b32_e32 v57, v68
	v_lshlrev_b64 v[56:57], 4, v[56:57]
	v_mad_u64_u32 v[71:72], s[2:3], s1, v167, v[63:64]
	v_mov_b32_e32 v59, v69
	v_mov_b32_e32 v74, s13
	v_lshlrev_b64 v[58:59], 4, v[58:59]
	v_add_co_u32_e32 v76, vcc, s12, v56
	v_mov_b32_e32 v61, v70
	v_addc_co_u32_e32 v77, vcc, v74, v57, vcc
	v_mad_u64_u32 v[66:67], s[8:9], s0, v165, 0
	v_lshlrev_b64 v[60:61], 4, v[60:61]
	v_add_co_u32_e32 v56, vcc, v76, v58
	v_mov_b32_e32 v63, v71
	v_addc_co_u32_e32 v57, vcc, v77, v59, vcc
	v_lshlrev_b64 v[62:63], 4, v[62:63]
	v_add_co_u32_e32 v58, vcc, v76, v60
	v_addc_co_u32_e32 v59, vcc, v77, v61, vcc
	v_mad_u64_u32 v[72:73], s[2:3], s1, v168, v[65:66]
	v_add_co_u32_e32 v60, vcc, v76, v62
	v_addc_co_u32_e32 v61, vcc, v77, v63, vcc
	v_mov_b32_e32 v65, v72
	s_mov_b32 s4, 0x745d1746
	s_mov_b32 s5, 0x3f8745d1
	v_lshlrev_b64 v[64:65], 4, v[64:65]
	s_waitcnt vmcnt(8) lgkmcnt(4)
	v_mul_f64 v[62:63], v[22:23], v[2:3]
	v_mul_f64 v[2:3], v[20:21], v[2:3]
	s_waitcnt vmcnt(7) lgkmcnt(3)
	v_mul_f64 v[68:69], v[26:27], v[6:7]
	v_mul_f64 v[6:7], v[24:25], v[6:7]
	s_waitcnt vmcnt(6) lgkmcnt(2)
	v_mul_f64 v[70:71], v[30:31], v[10:11]
	v_mul_f64 v[10:11], v[28:29], v[10:11]
	s_waitcnt vmcnt(5) lgkmcnt(1)
	v_mul_f64 v[72:73], v[34:35], v[14:15]
	v_mul_f64 v[14:15], v[32:33], v[14:15]
	v_fma_f64 v[20:21], v[20:21], v[0:1], v[62:63]
	v_fma_f64 v[2:3], v[0:1], v[22:23], -v[2:3]
	v_fma_f64 v[22:23], v[24:25], v[4:5], v[68:69]
	v_fma_f64 v[6:7], v[4:5], v[26:27], -v[6:7]
	v_fma_f64 v[24:25], v[28:29], v[8:9], v[70:71]
	v_fma_f64 v[10:11], v[8:9], v[30:31], -v[10:11]
	v_fma_f64 v[26:27], v[32:33], v[12:13], v[72:73]
	v_fma_f64 v[14:15], v[12:13], v[34:35], -v[14:15]
	v_mul_f64 v[0:1], v[20:21], s[4:5]
	v_mul_f64 v[2:3], v[2:3], s[4:5]
	;; [unrolled: 1-line block ×8, first 2 shown]
	s_waitcnt vmcnt(4) lgkmcnt(0)
	v_mul_f64 v[74:75], v[38:39], v[18:19]
	v_mul_f64 v[18:19], v[36:37], v[18:19]
	v_add_co_u32_e32 v20, vcc, v76, v64
	v_addc_co_u32_e32 v21, vcc, v77, v65, vcc
	global_store_dwordx4 v[56:57], v[0:3], off
	global_store_dwordx4 v[58:59], v[4:7], off
	;; [unrolled: 1-line block ×4, first 2 shown]
	v_mov_b32_e32 v0, v67
	ds_read_b128 v[4:7], v89 offset:640
	ds_read_b128 v[12:15], v89 offset:768
	v_mad_u64_u32 v[8:9], s[2:3], s1, v165, v[0:1]
	v_fma_f64 v[22:23], v[36:37], v[16:17], v[74:75]
	v_fma_f64 v[16:17], v[16:17], v[38:39], -v[18:19]
	v_mov_b32_e32 v67, v8
	global_load_dwordx4 v[8:11], v161, s[6:7] offset:1152
	s_waitcnt vmcnt(8) lgkmcnt(1)
	v_mul_f64 v[18:19], v[6:7], v[42:43]
	v_mul_f64 v[20:21], v[4:5], v[42:43]
	s_waitcnt vmcnt(7) lgkmcnt(0)
	v_mul_f64 v[24:25], v[14:15], v[46:47]
	v_mul_f64 v[26:27], v[12:13], v[46:47]
	;; [unrolled: 1-line block ×4, first 2 shown]
	v_mad_u64_u32 v[22:23], s[2:3], s0, v164, 0
	v_fma_f64 v[18:19], v[4:5], v[40:41], v[18:19]
	v_fma_f64 v[20:21], v[40:41], v[6:7], -v[20:21]
	global_load_dwordx4 v[4:7], v161, s[6:7] offset:1280
	v_lshlrev_b64 v[16:17], 4, v[66:67]
	v_mad_u64_u32 v[28:29], s[2:3], s1, v164, v[23:24]
	v_add_co_u32_e32 v16, vcc, v76, v16
	v_addc_co_u32_e32 v17, vcc, v77, v17, vcc
	global_store_dwordx4 v[16:17], v[0:3], off
	v_fma_f64 v[12:13], v[12:13], v[44:45], v[24:25]
	v_mul_f64 v[0:1], v[18:19], s[4:5]
	v_mul_f64 v[2:3], v[20:21], s[4:5]
	v_mov_b32_e32 v23, v28
	v_lshlrev_b64 v[16:17], 4, v[22:23]
	v_mad_u64_u32 v[20:21], s[2:3], s0, v163, 0
	v_fma_f64 v[18:19], v[44:45], v[14:15], -v[26:27]
	v_add_co_u32_e32 v14, vcc, v76, v16
	v_addc_co_u32_e32 v15, vcc, v77, v17, vcc
	global_store_dwordx4 v[14:15], v[0:3], off
	v_mad_u64_u32 v[26:27], s[2:3], s0, v187, 0
	v_mov_b32_e32 v0, v21
	v_mad_u64_u32 v[16:17], s[2:3], s1, v163, v[0:1]
	v_mul_f64 v[0:1], v[12:13], s[4:5]
	ds_read_b128 v[12:15], v89 offset:896
	v_mul_f64 v[2:3], v[18:19], s[4:5]
	v_mov_b32_e32 v21, v16
	ds_read_b128 v[16:19], v89 offset:1024
	v_lshlrev_b64 v[20:21], 4, v[20:21]
	s_waitcnt vmcnt(9) lgkmcnt(1)
	v_mul_f64 v[22:23], v[14:15], v[50:51]
	v_mul_f64 v[24:25], v[12:13], v[50:51]
	v_add_co_u32_e32 v20, vcc, v76, v20
	s_waitcnt vmcnt(8) lgkmcnt(0)
	v_mul_f64 v[28:29], v[16:17], v[54:55]
	v_addc_co_u32_e32 v21, vcc, v77, v21, vcc
	global_store_dwordx4 v[20:21], v[0:3], off
	v_fma_f64 v[12:13], v[12:13], v[48:49], v[22:23]
	v_fma_f64 v[14:15], v[48:49], v[14:15], -v[24:25]
	v_mul_f64 v[23:24], v[18:19], v[54:55]
	v_mov_b32_e32 v22, v27
	v_mul_f64 v[0:1], v[12:13], s[4:5]
	v_mul_f64 v[2:3], v[14:15], s[4:5]
	v_mad_u64_u32 v[30:31], s[2:3], s1, v187, v[22:23]
	v_fma_f64 v[14:15], v[16:17], v[52:53], v[23:24]
	v_fma_f64 v[16:17], v[52:53], v[18:19], -v[28:29]
	v_mov_b32_e32 v27, v30
	v_lshlrev_b64 v[12:13], 4, v[26:27]
	v_mad_u64_u32 v[18:19], s[2:3], s0, v162, 0
	v_add_co_u32_e32 v12, vcc, v76, v12
	v_addc_co_u32_e32 v13, vcc, v77, v13, vcc
	global_store_dwordx4 v[12:13], v[0:3], off
	v_or_b32_e32 v26, 0x48, v157
	v_mov_b32_e32 v0, v19
	v_mad_u64_u32 v[19:20], s[2:3], s1, v162, v[0:1]
	v_mul_f64 v[0:1], v[14:15], s[4:5]
	ds_read_b128 v[12:15], v89 offset:1152
	v_mul_f64 v[2:3], v[16:17], s[4:5]
	v_lshlrev_b64 v[20:21], 4, v[18:19]
	ds_read_b128 v[16:19], v89 offset:1280
	v_mad_u64_u32 v[24:25], s[2:3], s0, v26, 0
	s_waitcnt vmcnt(5) lgkmcnt(1)
	v_mul_f64 v[22:23], v[14:15], v[10:11]
	v_mul_f64 v[10:11], v[12:13], v[10:11]
	v_add_co_u32_e32 v20, vcc, v76, v20
	v_addc_co_u32_e32 v21, vcc, v77, v21, vcc
	global_store_dwordx4 v[20:21], v[0:3], off
	v_or_b32_e32 v20, 0x50, v157
	v_fma_f64 v[12:13], v[12:13], v[8:9], v[22:23]
	v_fma_f64 v[8:9], v[8:9], v[14:15], -v[10:11]
	s_waitcnt vmcnt(5) lgkmcnt(0)
	v_mul_f64 v[14:15], v[18:19], v[6:7]
	v_mul_f64 v[6:7], v[16:17], v[6:7]
	v_mov_b32_e32 v10, v25
	v_mad_u64_u32 v[10:11], s[2:3], s1, v26, v[10:11]
	v_mul_f64 v[0:1], v[12:13], s[4:5]
	v_mov_b32_e32 v25, v10
	v_fma_f64 v[10:11], v[16:17], v[4:5], v[14:15]
	v_fma_f64 v[6:7], v[4:5], v[18:19], -v[6:7]
	v_mad_u64_u32 v[12:13], s[2:3], s0, v20, 0
	v_mul_f64 v[2:3], v[8:9], s[4:5]
	v_lshlrev_b64 v[8:9], 4, v[24:25]
	v_mov_b32_e32 v4, v13
	v_mad_u64_u32 v[13:14], s[0:1], s1, v20, v[4:5]
	v_mul_f64 v[4:5], v[10:11], s[4:5]
	v_mul_f64 v[6:7], v[6:7], s[4:5]
	v_add_co_u32_e32 v8, vcc, v76, v8
	v_addc_co_u32_e32 v9, vcc, v77, v9, vcc
	global_store_dwordx4 v[8:9], v[0:3], off
	s_nop 0
	v_lshlrev_b64 v[0:1], 4, v[12:13]
	v_add_co_u32_e32 v0, vcc, v76, v0
	v_addc_co_u32_e32 v1, vcc, v77, v1, vcc
	global_store_dwordx4 v[0:1], v[4:7], off
.LBB0_15:
	s_endpgm
	.section	.rodata,"a",@progbits
	.p2align	6, 0x0
	.amdhsa_kernel bluestein_single_back_len88_dim1_dp_op_CI_CI
		.amdhsa_group_segment_fixed_size 15488
		.amdhsa_private_segment_fixed_size 12
		.amdhsa_kernarg_size 104
		.amdhsa_user_sgpr_count 6
		.amdhsa_user_sgpr_private_segment_buffer 1
		.amdhsa_user_sgpr_dispatch_ptr 0
		.amdhsa_user_sgpr_queue_ptr 0
		.amdhsa_user_sgpr_kernarg_segment_ptr 1
		.amdhsa_user_sgpr_dispatch_id 0
		.amdhsa_user_sgpr_flat_scratch_init 0
		.amdhsa_user_sgpr_private_segment_size 0
		.amdhsa_uses_dynamic_stack 0
		.amdhsa_system_sgpr_private_segment_wavefront_offset 1
		.amdhsa_system_sgpr_workgroup_id_x 1
		.amdhsa_system_sgpr_workgroup_id_y 0
		.amdhsa_system_sgpr_workgroup_id_z 0
		.amdhsa_system_sgpr_workgroup_info 0
		.amdhsa_system_vgpr_workitem_id 0
		.amdhsa_next_free_vgpr 256
		.amdhsa_next_free_sgpr 48
		.amdhsa_reserve_vcc 1
		.amdhsa_reserve_flat_scratch 0
		.amdhsa_float_round_mode_32 0
		.amdhsa_float_round_mode_16_64 0
		.amdhsa_float_denorm_mode_32 3
		.amdhsa_float_denorm_mode_16_64 3
		.amdhsa_dx10_clamp 1
		.amdhsa_ieee_mode 1
		.amdhsa_fp16_overflow 0
		.amdhsa_exception_fp_ieee_invalid_op 0
		.amdhsa_exception_fp_denorm_src 0
		.amdhsa_exception_fp_ieee_div_zero 0
		.amdhsa_exception_fp_ieee_overflow 0
		.amdhsa_exception_fp_ieee_underflow 0
		.amdhsa_exception_fp_ieee_inexact 0
		.amdhsa_exception_int_div_zero 0
	.end_amdhsa_kernel
	.text
.Lfunc_end0:
	.size	bluestein_single_back_len88_dim1_dp_op_CI_CI, .Lfunc_end0-bluestein_single_back_len88_dim1_dp_op_CI_CI
                                        ; -- End function
	.section	.AMDGPU.csdata,"",@progbits
; Kernel info:
; codeLenInByte = 11040
; NumSgprs: 52
; NumVgprs: 256
; ScratchSize: 12
; MemoryBound: 0
; FloatMode: 240
; IeeeMode: 1
; LDSByteSize: 15488 bytes/workgroup (compile time only)
; SGPRBlocks: 6
; VGPRBlocks: 63
; NumSGPRsForWavesPerEU: 52
; NumVGPRsForWavesPerEU: 256
; Occupancy: 1
; WaveLimiterHint : 1
; COMPUTE_PGM_RSRC2:SCRATCH_EN: 1
; COMPUTE_PGM_RSRC2:USER_SGPR: 6
; COMPUTE_PGM_RSRC2:TRAP_HANDLER: 0
; COMPUTE_PGM_RSRC2:TGID_X_EN: 1
; COMPUTE_PGM_RSRC2:TGID_Y_EN: 0
; COMPUTE_PGM_RSRC2:TGID_Z_EN: 0
; COMPUTE_PGM_RSRC2:TIDIG_COMP_CNT: 0
	.type	__hip_cuid_5a55c5340132091f,@object ; @__hip_cuid_5a55c5340132091f
	.section	.bss,"aw",@nobits
	.globl	__hip_cuid_5a55c5340132091f
__hip_cuid_5a55c5340132091f:
	.byte	0                               ; 0x0
	.size	__hip_cuid_5a55c5340132091f, 1

	.ident	"AMD clang version 19.0.0git (https://github.com/RadeonOpenCompute/llvm-project roc-6.4.0 25133 c7fe45cf4b819c5991fe208aaa96edf142730f1d)"
	.section	".note.GNU-stack","",@progbits
	.addrsig
	.addrsig_sym __hip_cuid_5a55c5340132091f
	.amdgpu_metadata
---
amdhsa.kernels:
  - .args:
      - .actual_access:  read_only
        .address_space:  global
        .offset:         0
        .size:           8
        .value_kind:     global_buffer
      - .actual_access:  read_only
        .address_space:  global
        .offset:         8
        .size:           8
        .value_kind:     global_buffer
      - .actual_access:  read_only
        .address_space:  global
        .offset:         16
        .size:           8
        .value_kind:     global_buffer
      - .actual_access:  read_only
        .address_space:  global
        .offset:         24
        .size:           8
        .value_kind:     global_buffer
      - .actual_access:  read_only
        .address_space:  global
        .offset:         32
        .size:           8
        .value_kind:     global_buffer
      - .offset:         40
        .size:           8
        .value_kind:     by_value
      - .address_space:  global
        .offset:         48
        .size:           8
        .value_kind:     global_buffer
      - .address_space:  global
        .offset:         56
        .size:           8
        .value_kind:     global_buffer
      - .address_space:  global
        .offset:         64
        .size:           8
        .value_kind:     global_buffer
      - .address_space:  global
        .offset:         72
        .size:           8
        .value_kind:     global_buffer
      - .offset:         80
        .size:           4
        .value_kind:     by_value
      - .address_space:  global
        .offset:         88
        .size:           8
        .value_kind:     global_buffer
      - .address_space:  global
        .offset:         96
        .size:           8
        .value_kind:     global_buffer
    .group_segment_fixed_size: 15488
    .kernarg_segment_align: 8
    .kernarg_segment_size: 104
    .language:       OpenCL C
    .language_version:
      - 2
      - 0
    .max_flat_workgroup_size: 121
    .name:           bluestein_single_back_len88_dim1_dp_op_CI_CI
    .private_segment_fixed_size: 12
    .sgpr_count:     52
    .sgpr_spill_count: 0
    .symbol:         bluestein_single_back_len88_dim1_dp_op_CI_CI.kd
    .uniform_work_group_size: 1
    .uses_dynamic_stack: false
    .vgpr_count:     256
    .vgpr_spill_count: 2
    .wavefront_size: 64
amdhsa.target:   amdgcn-amd-amdhsa--gfx906
amdhsa.version:
  - 1
  - 2
...

	.end_amdgpu_metadata
